;; amdgpu-corpus repo=ROCm/rocFFT kind=compiled arch=gfx906 opt=O3
	.text
	.amdgcn_target "amdgcn-amd-amdhsa--gfx906"
	.amdhsa_code_object_version 6
	.protected	fft_rtc_back_len1100_factors_2_2_11_5_5_wgs_110_tpt_110_sp_op_CI_CI_unitstride_sbrr_dirReg ; -- Begin function fft_rtc_back_len1100_factors_2_2_11_5_5_wgs_110_tpt_110_sp_op_CI_CI_unitstride_sbrr_dirReg
	.globl	fft_rtc_back_len1100_factors_2_2_11_5_5_wgs_110_tpt_110_sp_op_CI_CI_unitstride_sbrr_dirReg
	.p2align	8
	.type	fft_rtc_back_len1100_factors_2_2_11_5_5_wgs_110_tpt_110_sp_op_CI_CI_unitstride_sbrr_dirReg,@function
fft_rtc_back_len1100_factors_2_2_11_5_5_wgs_110_tpt_110_sp_op_CI_CI_unitstride_sbrr_dirReg: ; @fft_rtc_back_len1100_factors_2_2_11_5_5_wgs_110_tpt_110_sp_op_CI_CI_unitstride_sbrr_dirReg
; %bb.0:
	s_load_dwordx4 s[8:11], s[4:5], 0x58
	s_load_dwordx4 s[12:15], s[4:5], 0x0
	;; [unrolled: 1-line block ×3, first 2 shown]
	v_mul_u32_u24_e32 v1, 0x254, v0
	v_add_u32_sdwa v5, s6, v1 dst_sel:DWORD dst_unused:UNUSED_PAD src0_sel:DWORD src1_sel:WORD_1
	v_mov_b32_e32 v3, 0
	s_waitcnt lgkmcnt(0)
	v_cmp_lt_u64_e64 s[0:1], s[14:15], 2
	v_mov_b32_e32 v1, 0
	v_mov_b32_e32 v6, v3
	s_and_b64 vcc, exec, s[0:1]
	v_mov_b32_e32 v2, 0
	s_cbranch_vccnz .LBB0_8
; %bb.1:
	s_load_dwordx2 s[0:1], s[4:5], 0x10
	s_add_u32 s2, s18, 8
	s_addc_u32 s3, s19, 0
	s_add_u32 s6, s16, 8
	v_mov_b32_e32 v1, 0
	s_addc_u32 s7, s17, 0
	v_mov_b32_e32 v2, 0
	s_waitcnt lgkmcnt(0)
	s_add_u32 s20, s0, 8
	v_mov_b32_e32 v21, v2
	s_addc_u32 s21, s1, 0
	s_mov_b64 s[22:23], 1
	v_mov_b32_e32 v20, v1
.LBB0_2:                                ; =>This Inner Loop Header: Depth=1
	s_load_dwordx2 s[24:25], s[20:21], 0x0
                                        ; implicit-def: $vgpr22_vgpr23
	s_waitcnt lgkmcnt(0)
	v_or_b32_e32 v4, s25, v6
	v_cmp_ne_u64_e32 vcc, 0, v[3:4]
	s_and_saveexec_b64 s[0:1], vcc
	s_xor_b64 s[26:27], exec, s[0:1]
	s_cbranch_execz .LBB0_4
; %bb.3:                                ;   in Loop: Header=BB0_2 Depth=1
	v_cvt_f32_u32_e32 v4, s24
	v_cvt_f32_u32_e32 v7, s25
	s_sub_u32 s0, 0, s24
	s_subb_u32 s1, 0, s25
	v_mac_f32_e32 v4, 0x4f800000, v7
	v_rcp_f32_e32 v4, v4
	v_mul_f32_e32 v4, 0x5f7ffffc, v4
	v_mul_f32_e32 v7, 0x2f800000, v4
	v_trunc_f32_e32 v7, v7
	v_mac_f32_e32 v4, 0xcf800000, v7
	v_cvt_u32_f32_e32 v7, v7
	v_cvt_u32_f32_e32 v4, v4
	v_mul_lo_u32 v8, s0, v7
	v_mul_hi_u32 v9, s0, v4
	v_mul_lo_u32 v11, s1, v4
	v_mul_lo_u32 v10, s0, v4
	v_add_u32_e32 v8, v9, v8
	v_add_u32_e32 v8, v8, v11
	v_mul_hi_u32 v9, v4, v10
	v_mul_lo_u32 v11, v4, v8
	v_mul_hi_u32 v13, v4, v8
	v_mul_hi_u32 v12, v7, v10
	v_mul_lo_u32 v10, v7, v10
	v_mul_hi_u32 v14, v7, v8
	v_add_co_u32_e32 v9, vcc, v9, v11
	v_addc_co_u32_e32 v11, vcc, 0, v13, vcc
	v_mul_lo_u32 v8, v7, v8
	v_add_co_u32_e32 v9, vcc, v9, v10
	v_addc_co_u32_e32 v9, vcc, v11, v12, vcc
	v_addc_co_u32_e32 v10, vcc, 0, v14, vcc
	v_add_co_u32_e32 v8, vcc, v9, v8
	v_addc_co_u32_e32 v9, vcc, 0, v10, vcc
	v_add_co_u32_e32 v4, vcc, v4, v8
	v_addc_co_u32_e32 v7, vcc, v7, v9, vcc
	v_mul_lo_u32 v8, s0, v7
	v_mul_hi_u32 v9, s0, v4
	v_mul_lo_u32 v10, s1, v4
	v_mul_lo_u32 v11, s0, v4
	v_add_u32_e32 v8, v9, v8
	v_add_u32_e32 v8, v8, v10
	v_mul_lo_u32 v12, v4, v8
	v_mul_hi_u32 v13, v4, v11
	v_mul_hi_u32 v14, v4, v8
	v_mul_hi_u32 v10, v7, v11
	v_mul_lo_u32 v11, v7, v11
	v_mul_hi_u32 v9, v7, v8
	v_add_co_u32_e32 v12, vcc, v13, v12
	v_addc_co_u32_e32 v13, vcc, 0, v14, vcc
	v_mul_lo_u32 v8, v7, v8
	v_add_co_u32_e32 v11, vcc, v12, v11
	v_addc_co_u32_e32 v10, vcc, v13, v10, vcc
	v_addc_co_u32_e32 v9, vcc, 0, v9, vcc
	v_add_co_u32_e32 v8, vcc, v10, v8
	v_addc_co_u32_e32 v9, vcc, 0, v9, vcc
	v_add_co_u32_e32 v4, vcc, v4, v8
	v_addc_co_u32_e32 v9, vcc, v7, v9, vcc
	v_mad_u64_u32 v[7:8], s[0:1], v5, v9, 0
	v_mul_hi_u32 v10, v5, v4
	v_add_co_u32_e32 v11, vcc, v10, v7
	v_addc_co_u32_e32 v12, vcc, 0, v8, vcc
	v_mad_u64_u32 v[7:8], s[0:1], v6, v4, 0
	v_mad_u64_u32 v[9:10], s[0:1], v6, v9, 0
	v_add_co_u32_e32 v4, vcc, v11, v7
	v_addc_co_u32_e32 v4, vcc, v12, v8, vcc
	v_addc_co_u32_e32 v7, vcc, 0, v10, vcc
	v_add_co_u32_e32 v4, vcc, v4, v9
	v_addc_co_u32_e32 v9, vcc, 0, v7, vcc
	v_mul_lo_u32 v10, s25, v4
	v_mul_lo_u32 v11, s24, v9
	v_mad_u64_u32 v[7:8], s[0:1], s24, v4, 0
	v_add3_u32 v8, v8, v11, v10
	v_sub_u32_e32 v10, v6, v8
	v_mov_b32_e32 v11, s25
	v_sub_co_u32_e32 v7, vcc, v5, v7
	v_subb_co_u32_e64 v10, s[0:1], v10, v11, vcc
	v_subrev_co_u32_e64 v11, s[0:1], s24, v7
	v_subbrev_co_u32_e64 v10, s[0:1], 0, v10, s[0:1]
	v_cmp_le_u32_e64 s[0:1], s25, v10
	v_cndmask_b32_e64 v12, 0, -1, s[0:1]
	v_cmp_le_u32_e64 s[0:1], s24, v11
	v_cndmask_b32_e64 v11, 0, -1, s[0:1]
	v_cmp_eq_u32_e64 s[0:1], s25, v10
	v_cndmask_b32_e64 v10, v12, v11, s[0:1]
	v_add_co_u32_e64 v11, s[0:1], 2, v4
	v_addc_co_u32_e64 v12, s[0:1], 0, v9, s[0:1]
	v_add_co_u32_e64 v13, s[0:1], 1, v4
	v_addc_co_u32_e64 v14, s[0:1], 0, v9, s[0:1]
	v_subb_co_u32_e32 v8, vcc, v6, v8, vcc
	v_cmp_ne_u32_e64 s[0:1], 0, v10
	v_cmp_le_u32_e32 vcc, s25, v8
	v_cndmask_b32_e64 v10, v14, v12, s[0:1]
	v_cndmask_b32_e64 v12, 0, -1, vcc
	v_cmp_le_u32_e32 vcc, s24, v7
	v_cndmask_b32_e64 v7, 0, -1, vcc
	v_cmp_eq_u32_e32 vcc, s25, v8
	v_cndmask_b32_e32 v7, v12, v7, vcc
	v_cmp_ne_u32_e32 vcc, 0, v7
	v_cndmask_b32_e64 v7, v13, v11, s[0:1]
	v_cndmask_b32_e32 v23, v9, v10, vcc
	v_cndmask_b32_e32 v22, v4, v7, vcc
.LBB0_4:                                ;   in Loop: Header=BB0_2 Depth=1
	s_andn2_saveexec_b64 s[0:1], s[26:27]
	s_cbranch_execz .LBB0_6
; %bb.5:                                ;   in Loop: Header=BB0_2 Depth=1
	v_cvt_f32_u32_e32 v4, s24
	s_sub_i32 s26, 0, s24
	v_mov_b32_e32 v23, v3
	v_rcp_iflag_f32_e32 v4, v4
	v_mul_f32_e32 v4, 0x4f7ffffe, v4
	v_cvt_u32_f32_e32 v4, v4
	v_mul_lo_u32 v7, s26, v4
	v_mul_hi_u32 v7, v4, v7
	v_add_u32_e32 v4, v4, v7
	v_mul_hi_u32 v4, v5, v4
	v_mul_lo_u32 v7, v4, s24
	v_add_u32_e32 v8, 1, v4
	v_sub_u32_e32 v7, v5, v7
	v_subrev_u32_e32 v9, s24, v7
	v_cmp_le_u32_e32 vcc, s24, v7
	v_cndmask_b32_e32 v7, v7, v9, vcc
	v_cndmask_b32_e32 v4, v4, v8, vcc
	v_add_u32_e32 v8, 1, v4
	v_cmp_le_u32_e32 vcc, s24, v7
	v_cndmask_b32_e32 v22, v4, v8, vcc
.LBB0_6:                                ;   in Loop: Header=BB0_2 Depth=1
	s_or_b64 exec, exec, s[0:1]
	v_mul_lo_u32 v4, v23, s24
	v_mul_lo_u32 v9, v22, s25
	v_mad_u64_u32 v[7:8], s[0:1], v22, s24, 0
	s_load_dwordx2 s[0:1], s[6:7], 0x0
	s_load_dwordx2 s[24:25], s[2:3], 0x0
	v_add3_u32 v4, v8, v9, v4
	v_sub_co_u32_e32 v5, vcc, v5, v7
	v_subb_co_u32_e32 v4, vcc, v6, v4, vcc
	s_waitcnt lgkmcnt(0)
	v_mul_lo_u32 v6, s0, v4
	v_mul_lo_u32 v7, s1, v5
	v_mad_u64_u32 v[1:2], s[0:1], s0, v5, v[1:2]
	v_mul_lo_u32 v4, s24, v4
	v_mul_lo_u32 v8, s25, v5
	v_mad_u64_u32 v[20:21], s[0:1], s24, v5, v[20:21]
	s_add_u32 s22, s22, 1
	s_addc_u32 s23, s23, 0
	s_add_u32 s2, s2, 8
	v_add3_u32 v21, v8, v21, v4
	s_addc_u32 s3, s3, 0
	v_mov_b32_e32 v4, s14
	s_add_u32 s6, s6, 8
	v_mov_b32_e32 v5, s15
	s_addc_u32 s7, s7, 0
	v_cmp_ge_u64_e32 vcc, s[22:23], v[4:5]
	s_add_u32 s20, s20, 8
	v_add3_u32 v2, v7, v2, v6
	s_addc_u32 s21, s21, 0
	s_cbranch_vccnz .LBB0_9
; %bb.7:                                ;   in Loop: Header=BB0_2 Depth=1
	v_mov_b32_e32 v5, v22
	v_mov_b32_e32 v6, v23
	s_branch .LBB0_2
.LBB0_8:
	v_mov_b32_e32 v21, v2
	v_mov_b32_e32 v23, v6
	;; [unrolled: 1-line block ×4, first 2 shown]
.LBB0_9:
	s_load_dwordx2 s[0:1], s[4:5], 0x28
	s_lshl_b64 s[6:7], s[14:15], 3
	s_add_u32 s2, s18, s6
	s_addc_u32 s3, s19, s7
                                        ; implicit-def: $sgpr14_sgpr15
                                        ; implicit-def: $vgpr26
	s_waitcnt lgkmcnt(0)
	v_cmp_gt_u64_e32 vcc, s[0:1], v[22:23]
	v_cmp_le_u64_e64 s[0:1], s[0:1], v[22:23]
	s_and_saveexec_b64 s[4:5], s[0:1]
	s_xor_b64 s[0:1], exec, s[4:5]
; %bb.10:
	s_mov_b32 s4, 0x253c826
	v_mul_hi_u32 v1, v0, s4
	s_mov_b64 s[14:15], 0
	v_mul_u32_u24_e32 v1, 0x6e, v1
	v_sub_u32_e32 v26, v0, v1
                                        ; implicit-def: $vgpr0
                                        ; implicit-def: $vgpr1_vgpr2
; %bb.11:
	s_or_saveexec_b64 s[4:5], s[0:1]
	v_mov_b32_e32 v6, s14
	v_mov_b32_e32 v19, s15
	;; [unrolled: 1-line block ×10, first 2 shown]
                                        ; implicit-def: $vgpr15
                                        ; implicit-def: $vgpr3
                                        ; implicit-def: $vgpr5
                                        ; implicit-def: $vgpr9
                                        ; implicit-def: $vgpr17
	s_xor_b64 exec, exec, s[4:5]
	s_cbranch_execz .LBB0_13
; %bb.12:
	s_add_u32 s0, s16, s6
	s_addc_u32 s1, s17, s7
	s_load_dwordx2 s[0:1], s[0:1], 0x0
	s_mov_b32 s6, 0x253c826
	v_mul_hi_u32 v5, v0, s6
	s_waitcnt lgkmcnt(0)
	v_mul_lo_u32 v6, s1, v22
	v_mul_lo_u32 v7, s0, v23
	v_mad_u64_u32 v[3:4], s[0:1], s0, v22, 0
	v_mul_u32_u24_e32 v5, 0x6e, v5
	v_sub_u32_e32 v26, v0, v5
	v_add3_u32 v4, v4, v7, v6
	v_lshlrev_b64 v[3:4], 3, v[3:4]
	v_mov_b32_e32 v0, s9
	v_add_co_u32_e64 v3, s[0:1], s8, v3
	v_addc_co_u32_e64 v4, s[0:1], v0, v4, s[0:1]
	v_lshlrev_b64 v[0:1], 3, v[1:2]
	v_lshlrev_b32_e32 v2, 3, v26
	v_add_co_u32_e64 v0, s[0:1], v3, v0
	v_addc_co_u32_e64 v1, s[0:1], v4, v1, s[0:1]
	v_add_co_u32_e64 v0, s[0:1], v0, v2
	v_addc_co_u32_e64 v1, s[0:1], 0, v1, s[0:1]
	s_movk_i32 s0, 0x1000
	v_add_co_u32_e64 v27, s[0:1], s0, v0
	v_addc_co_u32_e64 v28, s[0:1], 0, v1, s[0:1]
	global_load_dwordx2 v[2:3], v[27:28], off offset:1184
	global_load_dwordx2 v[4:5], v[27:28], off offset:2064
	global_load_dwordx2 v[6:7], v[0:1], off
	global_load_dwordx2 v[18:19], v[0:1], off offset:880
	global_load_dwordx2 v[10:11], v[0:1], off offset:1760
	;; [unrolled: 1-line block ×7, first 2 shown]
.LBB0_13:
	s_or_b64 exec, exec, s[4:5]
	s_waitcnt vmcnt(3)
	v_sub_f32_e32 v0, v6, v14
	v_sub_f32_e32 v1, v7, v15
	;; [unrolled: 1-line block ×3, first 2 shown]
	s_waitcnt vmcnt(0)
	v_sub_f32_e32 v8, v24, v8
	v_fma_f32 v6, v6, 2.0, -v0
	v_fma_f32 v7, v7, 2.0, -v1
	v_sub_f32_e32 v3, v19, v3
	v_fma_f32 v14, v18, 2.0, -v2
	v_sub_f32_e32 v9, v25, v9
	v_fma_f32 v18, v24, 2.0, -v8
	v_lshl_add_u32 v24, v26, 4, 0
	v_add_u32_e32 v27, 0x6e, v26
	v_fma_f32 v15, v19, 2.0, -v3
	v_sub_f32_e32 v4, v10, v4
	v_sub_f32_e32 v5, v11, v5
	v_fma_f32 v19, v25, 2.0, -v9
	ds_write2_b64 v24, v[6:7], v[0:1] offset1:1
	v_lshl_add_u32 v0, v27, 4, 0
	v_add_u32_e32 v25, 0xdc, v26
	v_fma_f32 v10, v10, 2.0, -v4
	v_fma_f32 v11, v11, 2.0, -v5
	v_sub_f32_e32 v16, v12, v16
	v_sub_f32_e32 v17, v13, v17
	ds_write2_b64 v0, v[14:15], v[2:3] offset1:1
	v_lshl_add_u32 v0, v25, 4, 0
	v_add_u32_e32 v36, 0x14a, v26
	v_fma_f32 v12, v12, 2.0, -v16
	v_fma_f32 v13, v13, 2.0, -v17
	ds_write2_b64 v0, v[10:11], v[4:5] offset1:1
	v_lshl_add_u32 v0, v36, 4, 0
	v_add_u32_e32 v37, 0x1b8, v26
	ds_write2_b64 v0, v[12:13], v[16:17] offset1:1
	v_lshl_add_u32 v0, v37, 4, 0
	v_and_b32_e32 v38, 1, v26
	ds_write2_b64 v0, v[18:19], v[8:9] offset1:1
	v_lshlrev_b32_e32 v0, 3, v38
	s_load_dwordx2 s[2:3], s[2:3], 0x0
	s_waitcnt lgkmcnt(0)
	s_barrier
	global_load_dwordx2 v[8:9], v0, s[12:13]
	v_lshlrev_b32_e32 v39, 3, v26
	v_sub_u32_e32 v4, v24, v39
	v_add_u32_e32 v0, 0xc00, v4
	v_add_u32_e32 v1, 0x1400, v4
	ds_read2_b64 v[16:19], v4 offset1:110
	ds_read2_b64 v[28:31], v0 offset0:56 offset1:166
	ds_read2_b64 v[0:3], v1 offset0:20 offset1:130
	v_add_u32_e32 v5, 0x1800, v4
	v_add_u32_e32 v10, 0x400, v4
	ds_read2_b64 v[4:7], v5 offset0:112 offset1:222
	ds_read2_b64 v[32:35], v10 offset0:92 offset1:202
	s_movk_i32 s0, 0xfc
	s_waitcnt vmcnt(0) lgkmcnt(0)
	s_barrier
	v_lshlrev_b32_e32 v25, 1, v25
	v_mul_f32_e32 v11, v9, v1
	v_mul_f32_e32 v10, v9, v31
	;; [unrolled: 1-line block ×5, first 2 shown]
	v_fmac_f32_e32 v11, v8, v0
	v_mul_f32_e32 v12, v9, v0
	v_mul_f32_e32 v13, v9, v3
	;; [unrolled: 1-line block ×4, first 2 shown]
	v_fmac_f32_e32 v15, v8, v4
	v_fma_f32 v4, v8, v5, -v40
	v_fmac_f32_e32 v41, v8, v6
	v_fmac_f32_e32 v10, v8, v30
	v_sub_f32_e32 v6, v18, v11
	v_mul_f32_e32 v9, v9, v30
	v_fma_f32 v0, v8, v1, -v12
	v_fmac_f32_e32 v13, v8, v2
	v_fma_f32 v1, v8, v3, -v14
	v_sub_f32_e32 v2, v16, v10
	v_sub_f32_e32 v14, v34, v15
	v_sub_f32_e32 v15, v35, v4
	v_fma_f32 v4, v18, 2.0, -v6
	v_sub_f32_e32 v18, v28, v41
	v_fma_f32 v40, v8, v7, -v42
	v_fma_f32 v3, v8, v31, -v9
	v_sub_f32_e32 v7, v19, v0
	v_fma_f32 v0, v16, 2.0, -v2
	v_fma_f32 v16, v28, 2.0, -v18
	v_lshlrev_b32_e32 v28, 1, v26
	v_sub_f32_e32 v3, v17, v3
	v_and_or_b32 v28, v28, s0, v38
	v_sub_f32_e32 v11, v33, v1
	v_fma_f32 v1, v17, 2.0, -v3
	v_lshl_add_u32 v28, v28, 3, 0
	ds_write2_b64 v28, v[0:1], v[2:3] offset1:2
	s_movk_i32 s0, 0x1fc
	v_lshlrev_b32_e32 v28, 1, v27
	v_and_or_b32 v28, v28, s0, v38
	s_movk_i32 s0, 0x3fc
	v_sub_f32_e32 v10, v32, v13
	v_fma_f32 v5, v19, 2.0, -v7
	v_lshl_add_u32 v28, v28, 3, 0
	v_and_or_b32 v25, v25, s0, v38
	v_fma_f32 v8, v32, 2.0, -v10
	v_fma_f32 v9, v33, 2.0, -v11
	ds_write2_b64 v28, v[4:5], v[6:7] offset1:2
	v_lshlrev_b32_e32 v28, 1, v36
	v_lshl_add_u32 v25, v25, 3, 0
	v_sub_f32_e32 v19, v29, v40
	ds_write2_b64 v25, v[8:9], v[10:11] offset1:2
	v_and_or_b32 v25, v28, s0, v38
	v_fma_f32 v12, v34, 2.0, -v14
	v_fma_f32 v13, v35, 2.0, -v15
	;; [unrolled: 1-line block ×3, first 2 shown]
	v_lshlrev_b32_e32 v29, 1, v37
	v_lshl_add_u32 v25, v25, 3, 0
	s_movk_i32 s0, 0x7fc
	v_sub_u32_e32 v30, 0, v39
	ds_write2_b64 v25, v[12:13], v[14:15] offset1:2
	v_and_or_b32 v25, v29, s0, v38
	s_movk_i32 s0, 0x64
	v_lshl_add_u32 v25, v25, 3, 0
	v_cmp_gt_u32_e64 s[0:1], s0, v26
	v_add_u32_e32 v28, v24, v30
	ds_write2_b64 v25, v[16:17], v[18:19] offset1:2
	s_waitcnt lgkmcnt(0)
	s_barrier
	s_waitcnt lgkmcnt(0)
                                        ; implicit-def: $vgpr25
	s_and_saveexec_b64 s[4:5], s[0:1]
	s_cbranch_execz .LBB0_15
; %bb.14:
	v_add_u32_e32 v4, 0x400, v28
	v_add_u32_e32 v8, 0x800, v28
	;; [unrolled: 1-line block ×4, first 2 shown]
	ds_read2_b64 v[0:3], v28 offset1:100
	ds_read2_b64 v[4:7], v4 offset0:72 offset1:172
	ds_read2_b64 v[8:11], v8 offset0:144 offset1:244
	;; [unrolled: 1-line block ×4, first 2 shown]
	ds_read_b64 v[24:25], v28 offset:8000
.LBB0_15:
	s_or_b64 exec, exec, s[4:5]
	s_waitcnt lgkmcnt(0)
	s_barrier
	s_and_saveexec_b64 s[4:5], s[0:1]
	s_cbranch_execz .LBB0_17
; %bb.16:
	v_and_b32_e32 v29, 3, v26
	v_mul_u32_u24_e32 v30, 10, v29
	v_lshlrev_b32_e32 v50, 3, v30
	global_load_dwordx4 v[30:33], v50, s[12:13] offset:80
	global_load_dwordx4 v[34:37], v50, s[12:13] offset:64
	;; [unrolled: 1-line block ×5, first 2 shown]
	s_mov_b32 s1, 0xbe11bafb
	s_mov_b32 s0, 0xbf75a155
	;; [unrolled: 1-line block ×5, first 2 shown]
	s_waitcnt vmcnt(4)
	v_mul_f32_e32 v50, v25, v33
	v_mul_f32_e32 v33, v24, v33
	v_fmac_f32_e32 v50, v24, v32
	v_fma_f32 v24, v25, v32, -v33
	s_waitcnt vmcnt(0)
	v_mul_f32_e32 v59, v3, v47
	v_mul_f32_e32 v47, v2, v47
	v_mul_f32_e32 v58, v5, v49
	v_fmac_f32_e32 v59, v2, v46
	v_fma_f32 v2, v3, v46, -v47
	v_mul_f32_e32 v51, v19, v31
	v_mul_f32_e32 v31, v18, v31
	;; [unrolled: 1-line block ×9, first 2 shown]
	v_fmac_f32_e32 v58, v4, v48
	v_add_f32_e32 v4, v2, v24
	v_mul_f32_e32 v53, v15, v35
	v_mul_f32_e32 v35, v14, v35
	;; [unrolled: 1-line block ×4, first 2 shown]
	v_fmac_f32_e32 v51, v18, v30
	v_fma_f32 v18, v19, v30, -v31
	v_fmac_f32_e32 v52, v16, v36
	v_fma_f32 v16, v17, v36, -v37
	;; [unrolled: 2-line block ×3, first 2 shown]
	v_fma_f32 v19, v9, v44, -v45
	v_sub_f32_e32 v3, v59, v50
	v_mul_f32_e32 v9, 0xbf27a4f4, v4
	v_mul_f32_e32 v10, 0x3ed4b147, v4
	;; [unrolled: 1-line block ×3, first 2 shown]
	v_fmac_f32_e32 v53, v14, v34
	v_fma_f32 v14, v15, v34, -v35
	v_fmac_f32_e32 v56, v8, v44
	v_fmac_f32_e32 v57, v6, v42
	v_fma_f32 v25, v7, v42, -v43
	v_sub_f32_e32 v6, v2, v24
	v_mul_f32_e32 v7, 0xbf7d64f0, v3
	v_mul_f32_e32 v8, 0xbe903f40, v3
	v_mov_b32_e32 v35, v9
	v_mov_b32_e32 v36, v10
	;; [unrolled: 1-line block ×3, first 2 shown]
	v_mul_f32_e32 v54, v13, v41
	v_mul_f32_e32 v41, v12, v41
	;; [unrolled: 1-line block ×4, first 2 shown]
	v_mov_b32_e32 v33, v7
	v_mov_b32_e32 v34, v8
	v_fmac_f32_e32 v9, 0xbf4178ce, v3
	v_fmac_f32_e32 v10, 0xbf68dda4, v3
	;; [unrolled: 1-line block ×6, first 2 shown]
	v_mul_f32_e32 v3, 0xbf0a6770, v6
	v_fmac_f32_e32 v54, v12, v40
	v_fma_f32 v15, v13, v40, -v41
	v_fma_f32 v30, v5, v48, -v49
	v_add_f32_e32 v5, v59, v50
	v_mul_f32_e32 v12, 0xbe903f40, v6
	v_mul_f32_e32 v13, 0xbf7d64f0, v6
	v_fma_f32 v8, v4, s0, -v8
	v_fma_f32 v7, v4, s1, -v7
	v_mov_b32_e32 v40, v31
	v_mov_b32_e32 v41, v32
	v_fmac_f32_e32 v33, 0xbe11bafb, v4
	v_fmac_f32_e32 v34, 0xbf75a155, v4
	v_mov_b32_e32 v4, v3
	v_sub_f32_e32 v49, v58, v51
	v_fma_f32 v38, v5, s0, -v12
	v_fmac_f32_e32 v12, 0xbf75a155, v5
	v_fma_f32 v39, v5, s1, -v13
	v_fmac_f32_e32 v13, 0xbe11bafb, v5
	v_fmac_f32_e32 v40, 0xbf27a4f4, v5
	;; [unrolled: 1-line block ×4, first 2 shown]
	v_fma_f32 v6, v5, s6, -v31
	v_fma_f32 v31, v5, s7, -v32
	;; [unrolled: 1-line block ×3, first 2 shown]
	v_add_f32_e32 v44, v1, v9
	v_mul_f32_e32 v9, 0x3e903f40, v49
	v_sub_f32_e32 v60, v57, v52
	v_add_f32_e32 v5, v1, v33
	v_add_f32_e32 v32, v0, v39
	;; [unrolled: 1-line block ×15, first 2 shown]
	v_mov_b32_e32 v0, v9
	v_mul_f32_e32 v10, 0x3f68dda4, v60
	v_add_f32_e32 v8, v1, v8
	v_add_f32_e32 v35, v1, v35
	v_add_f32_e32 v39, v1, v7
	v_add_f32_e32 v36, v1, v36
	v_add_f32_e32 v37, v1, v37
	v_add_f32_e32 v42, v1, v2
	v_add_f32_e32 v47, v1, v11
	v_fmac_f32_e32 v0, 0xbf75a155, v59
	v_add_f32_e32 v61, v25, v16
	v_mov_b32_e32 v1, v10
	v_sub_f32_e32 v62, v56, v53
	v_add_f32_e32 v0, v0, v5
	v_fmac_f32_e32 v1, 0x3ed4b147, v61
	v_mul_f32_e32 v11, 0xbf0a6770, v62
	v_add_f32_e32 v0, v1, v0
	v_add_f32_e32 v63, v19, v14
	v_mov_b32_e32 v1, v11
	v_sub_f32_e32 v65, v30, v18
	v_fmac_f32_e32 v1, 0x3f575c64, v63
	v_add_f32_e32 v64, v58, v51
	v_mul_f32_e32 v66, 0x3e903f40, v65
	v_add_f32_e32 v0, v1, v0
	v_fma_f32 v1, v64, s0, -v66
	v_sub_f32_e32 v67, v25, v16
	v_add_f32_e32 v1, v1, v32
	v_add_f32_e32 v32, v57, v52
	v_mul_f32_e32 v68, 0x3f68dda4, v67
	v_sub_f32_e32 v70, v19, v14
	v_fma_f32 v2, v32, s7, -v68
	v_add_f32_e32 v69, v56, v53
	v_mul_f32_e32 v71, 0xbf0a6770, v70
	v_sub_f32_e32 v72, v55, v54
	v_add_f32_e32 v1, v2, v1
	v_fma_f32 v2, v69, s8, -v71
	v_mul_f32_e32 v73, 0xbf4178ce, v72
	v_add_f32_e32 v2, v2, v1
	v_add_f32_e32 v74, v17, v15
	v_mov_b32_e32 v1, v73
	v_sub_f32_e32 v76, v17, v15
	v_fmac_f32_e32 v1, 0xbf27a4f4, v74
	v_add_f32_e32 v75, v55, v54
	v_mul_f32_e32 v77, 0xbf4178ce, v76
	v_add_f32_e32 v1, v1, v0
	v_fma_f32 v0, v75, s6, -v77
	v_mul_f32_e32 v4, 0x3f0a6770, v49
	v_add_f32_e32 v0, v0, v2
	v_mov_b32_e32 v2, v4
	v_mul_f32_e32 v5, 0xbf4178ce, v60
	v_fmac_f32_e32 v2, 0x3f575c64, v59
	v_mov_b32_e32 v3, v5
	v_add_f32_e32 v2, v2, v33
	v_fmac_f32_e32 v3, 0xbf27a4f4, v61
	v_mul_f32_e32 v6, 0x3f68dda4, v62
	v_add_f32_e32 v2, v3, v2
	v_mov_b32_e32 v3, v6
	v_fmac_f32_e32 v3, 0x3ed4b147, v63
	v_mul_f32_e32 v7, 0x3f0a6770, v65
	v_add_f32_e32 v2, v3, v2
	v_fma_f32 v3, v64, s8, -v7
	v_mul_f32_e32 v33, 0xbf4178ce, v67
	v_add_f32_e32 v3, v3, v34
	v_fma_f32 v34, v32, s6, -v33
	v_fma_f32 v4, v59, s8, -v4
	v_add_f32_e32 v3, v34, v3
	v_mul_f32_e32 v34, 0x3f68dda4, v70
	v_add_f32_e32 v4, v4, v8
	v_fma_f32 v5, v61, s6, -v5
	v_fma_f32 v78, v69, s7, -v34
	v_mul_f32_e32 v79, 0xbf7d64f0, v72
	v_add_f32_e32 v4, v5, v4
	v_fma_f32 v5, v63, s7, -v6
	v_fmac_f32_e32 v7, 0x3f575c64, v64
	v_add_f32_e32 v78, v78, v3
	v_mov_b32_e32 v3, v79
	v_add_f32_e32 v4, v5, v4
	v_add_f32_e32 v5, v7, v12
	v_fmac_f32_e32 v33, 0xbf27a4f4, v32
	v_fmac_f32_e32 v3, 0xbe11bafb, v74
	v_mul_f32_e32 v80, 0xbf7d64f0, v76
	v_add_f32_e32 v5, v33, v5
	v_fmac_f32_e32 v34, 0x3ed4b147, v69
	v_add_f32_e32 v3, v3, v2
	v_fma_f32 v2, v75, s1, -v80
	v_add_f32_e32 v6, v34, v5
	v_fma_f32 v5, v74, s1, -v79
	v_fmac_f32_e32 v80, 0xbe11bafb, v75
	v_mul_f32_e32 v33, 0xbe11bafb, v59
	v_add_f32_e32 v5, v5, v4
	v_add_f32_e32 v4, v80, v6
	v_mov_b32_e32 v6, v33
	v_mul_f32_e32 v34, 0x3f575c64, v61
	v_fmac_f32_e32 v6, 0xbf7d64f0, v49
	v_mov_b32_e32 v7, v34
	v_add_f32_e32 v6, v6, v35
	v_fmac_f32_e32 v7, 0x3f0a6770, v60
	v_mul_f32_e32 v35, 0xbf75a155, v63
	v_add_f32_e32 v6, v7, v6
	v_mov_b32_e32 v7, v35
	v_add_f32_e32 v2, v2, v78
	v_fmac_f32_e32 v7, 0x3e903f40, v62
	v_mul_f32_e32 v78, 0x3f7d64f0, v65
	v_add_f32_e32 v6, v7, v6
	v_mov_b32_e32 v7, v78
	v_fmac_f32_e32 v7, 0xbe11bafb, v64
	v_add_f32_e32 v7, v7, v38
	v_mul_f32_e32 v38, 0xbf0a6770, v67
	v_mov_b32_e32 v8, v38
	v_fmac_f32_e32 v8, 0x3f575c64, v32
	v_mul_f32_e32 v79, 0xbe903f40, v70
	v_add_f32_e32 v7, v8, v7
	v_mov_b32_e32 v8, v79
	v_fmac_f32_e32 v8, 0xbf75a155, v69
	v_mul_f32_e32 v80, 0x3ed4b147, v74
	v_add_f32_e32 v8, v8, v7
	;; [unrolled: 4-line block ×3, first 2 shown]
	v_mov_b32_e32 v6, v81
	v_fmac_f32_e32 v6, 0x3ed4b147, v75
	v_add_f32_e32 v6, v6, v8
	v_fma_f32 v8, v59, s0, -v9
	v_add_f32_e32 v8, v8, v39
	v_fma_f32 v9, v61, s7, -v10
	v_add_f32_e32 v8, v9, v8
	v_fma_f32 v9, v63, s8, -v11
	v_fmac_f32_e32 v66, 0xbf75a155, v64
	v_add_f32_e32 v8, v9, v8
	v_add_f32_e32 v9, v66, v13
	v_fmac_f32_e32 v68, 0x3ed4b147, v32
	v_add_f32_e32 v9, v68, v9
	v_fmac_f32_e32 v71, 0x3f575c64, v69
	v_add_f32_e32 v10, v71, v9
	v_fma_f32 v9, v74, s6, -v73
	v_fmac_f32_e32 v77, 0xbf27a4f4, v75
	v_mul_f32_e32 v39, 0xbf27a4f4, v59
	v_add_f32_e32 v9, v9, v8
	v_add_f32_e32 v8, v77, v10
	v_mov_b32_e32 v10, v39
	v_fmac_f32_e32 v10, 0x3f4178ce, v49
	v_add_f32_e32 v10, v10, v36
	v_mul_f32_e32 v36, 0xbf75a155, v61
	v_mov_b32_e32 v11, v36
	v_fmac_f32_e32 v11, 0xbe903f40, v60
	v_mul_f32_e32 v66, 0xbe11bafb, v63
	v_add_f32_e32 v10, v11, v10
	v_mov_b32_e32 v11, v66
	v_fmac_f32_e32 v11, 0xbf7d64f0, v62
	v_mul_f32_e32 v68, 0xbf4178ce, v65
	v_add_f32_e32 v10, v11, v10
	v_mov_b32_e32 v11, v68
	v_fmac_f32_e32 v11, 0xbf27a4f4, v64
	v_add_f32_e32 v11, v11, v40
	v_mul_f32_e32 v40, 0x3e903f40, v67
	v_mov_b32_e32 v12, v40
	v_add_f32_e32 v30, v42, v30
	v_fmac_f32_e32 v12, 0xbf75a155, v32
	v_mul_f32_e32 v71, 0x3f7d64f0, v70
	v_add_f32_e32 v25, v30, v25
	v_add_f32_e32 v11, v12, v11
	v_mov_b32_e32 v12, v71
	v_add_f32_e32 v19, v25, v19
	v_fmac_f32_e32 v12, 0xbe11bafb, v69
	v_mul_f32_e32 v73, 0x3f575c64, v74
	v_add_f32_e32 v17, v19, v17
	v_add_f32_e32 v12, v12, v11
	;; [unrolled: 6-line block ×3, first 2 shown]
	v_add_f32_e32 v11, v11, v10
	v_mov_b32_e32 v10, v77
	v_add_f32_e32 v15, v15, v57
	v_fmac_f32_e32 v10, 0x3f575c64, v75
	v_mul_f32_e32 v59, 0x3ed4b147, v59
	v_add_f32_e32 v15, v15, v56
	v_add_f32_e32 v10, v10, v12
	v_mov_b32_e32 v12, v59
	v_add_f32_e32 v15, v15, v55
	v_fmac_f32_e32 v12, 0x3f68dda4, v49
	v_add_f32_e32 v15, v15, v54
	v_add_f32_e32 v12, v12, v37
	v_mul_f32_e32 v37, 0xbe11bafb, v61
	v_add_f32_e32 v15, v15, v53
	v_mov_b32_e32 v13, v37
	v_add_f32_e32 v14, v14, v16
	v_add_f32_e32 v15, v15, v52
	v_fmac_f32_e32 v13, 0x3f7d64f0, v60
	v_mul_f32_e32 v61, 0xbf27a4f4, v63
	v_add_f32_e32 v14, v14, v18
	v_add_f32_e32 v16, v15, v51
	v_fmac_f32_e32 v33, 0x3f7d64f0, v49
	v_add_f32_e32 v12, v13, v12
	v_mov_b32_e32 v13, v61
	v_add_f32_e32 v15, v14, v24
	v_add_f32_e32 v14, v16, v50
	v_add_f32_e32 v16, v33, v44
	v_fmac_f32_e32 v34, 0xbf0a6770, v60
	v_fma_f32 v17, v64, s1, -v78
	v_fmac_f32_e32 v13, 0x3f4178ce, v62
	v_mul_f32_e32 v63, 0xbf68dda4, v65
	v_add_f32_e32 v16, v34, v16
	v_fmac_f32_e32 v35, 0xbe903f40, v62
	v_add_f32_e32 v17, v17, v45
	v_fma_f32 v18, v32, s8, -v38
	v_add_f32_e32 v12, v13, v12
	v_mov_b32_e32 v13, v63
	v_add_f32_e32 v16, v35, v16
	v_add_f32_e32 v17, v18, v17
	v_fma_f32 v18, v69, s0, -v79
	v_fmac_f32_e32 v80, 0x3f68dda4, v72
	v_fmac_f32_e32 v13, 0x3ed4b147, v64
	v_add_f32_e32 v18, v18, v17
	v_add_f32_e32 v17, v80, v16
	v_fma_f32 v16, v75, s7, -v81
	v_fmac_f32_e32 v39, 0xbf4178ce, v49
	v_add_f32_e32 v13, v13, v41
	v_mul_f32_e32 v41, 0xbf7d64f0, v67
	v_add_f32_e32 v16, v16, v18
	v_add_f32_e32 v18, v39, v46
	v_fmac_f32_e32 v36, 0x3e903f40, v60
	v_fma_f32 v19, v64, s6, -v68
	v_mov_b32_e32 v65, v41
	v_add_f32_e32 v18, v36, v18
	v_fmac_f32_e32 v66, 0x3f7d64f0, v62
	v_add_f32_e32 v19, v19, v31
	v_fma_f32 v24, v32, s0, -v40
	v_fmac_f32_e32 v65, 0xbe11bafb, v32
	v_add_f32_e32 v18, v66, v18
	v_add_f32_e32 v19, v24, v19
	v_fma_f32 v24, v69, s1, -v71
	v_fmac_f32_e32 v73, 0x3f0a6770, v72
	v_add_f32_e32 v13, v65, v13
	v_mul_f32_e32 v65, 0xbf4178ce, v70
	v_add_f32_e32 v24, v24, v19
	v_add_f32_e32 v19, v73, v18
	v_fma_f32 v18, v75, s8, -v77
	v_fmac_f32_e32 v59, 0xbf68dda4, v49
	v_mov_b32_e32 v67, v65
	v_add_f32_e32 v18, v18, v24
	v_add_f32_e32 v24, v59, v47
	v_fmac_f32_e32 v37, 0xbf7d64f0, v60
	v_fmac_f32_e32 v67, 0xbf27a4f4, v69
	v_mul_f32_e32 v70, 0xbf75a155, v74
	v_add_f32_e32 v24, v37, v24
	v_fmac_f32_e32 v61, 0xbf4178ce, v62
	v_add_f32_e32 v67, v67, v13
	v_mov_b32_e32 v13, v70
	v_add_f32_e32 v24, v61, v24
	v_fmac_f32_e32 v70, 0xbe903f40, v72
	v_fma_f32 v30, v64, s7, -v63
	v_add_f32_e32 v25, v70, v24
	v_add_f32_e32 v24, v30, v48
	v_fma_f32 v30, v32, s1, -v41
	v_mul_f32_e32 v74, 0xbe903f40, v76
	v_add_f32_e32 v24, v30, v24
	v_fma_f32 v30, v69, s6, -v65
	v_add_f32_e32 v24, v30, v24
	v_fma_f32 v30, v75, s0, -v74
	v_fmac_f32_e32 v13, 0x3e903f40, v72
	v_add_f32_e32 v24, v30, v24
	v_lshrrev_b32_e32 v30, 2, v26
	v_add_f32_e32 v13, v13, v12
	v_mov_b32_e32 v12, v74
	v_mul_u32_u24_e32 v30, 44, v30
	v_fmac_f32_e32 v12, 0xbf75a155, v75
	v_or_b32_e32 v29, v30, v29
	v_add_f32_e32 v12, v12, v67
	v_lshl_add_u32 v29, v29, 3, 0
	ds_write2_b64 v29, v[14:15], v[12:13] offset1:4
	ds_write2_b64 v29, v[10:11], v[8:9] offset0:8 offset1:12
	ds_write2_b64 v29, v[6:7], v[4:5] offset0:16 offset1:20
	ds_write2_b64 v29, v[2:3], v[16:17] offset0:24 offset1:28
	ds_write2_b64 v29, v[0:1], v[18:19] offset0:32 offset1:36
	ds_write_b64 v29, v[24:25] offset:320
.LBB0_17:
	s_or_b64 exec, exec, s[4:5]
	s_movk_i32 s0, 0xbb
	v_mul_lo_u16_sdwa v0, v26, s0 dst_sel:DWORD dst_unused:UNUSED_PAD src0_sel:BYTE_0 src1_sel:DWORD
	v_lshrrev_b16_e32 v49, 13, v0
	v_mul_lo_u16_e32 v0, 44, v49
	v_sub_u16_e32 v50, v26, v0
	v_mov_b32_e32 v0, 5
	v_lshlrev_b32_sdwa v1, v0, v50 dst_sel:DWORD dst_unused:UNUSED_PAD src0_sel:DWORD src1_sel:BYTE_0
	s_waitcnt lgkmcnt(0)
	s_barrier
	global_load_dwordx4 v[4:7], v1, s[12:13] offset:336
	global_load_dwordx4 v[8:11], v1, s[12:13] offset:352
	v_mul_lo_u16_sdwa v1, v27, s0 dst_sel:DWORD dst_unused:UNUSED_PAD src0_sel:BYTE_0 src1_sel:DWORD
	v_lshrrev_b16_e32 v51, 13, v1
	v_mul_lo_u16_e32 v1, 44, v51
	v_sub_u16_e32 v52, v27, v1
	v_lshlrev_b32_sdwa v0, v0, v52 dst_sel:DWORD dst_unused:UNUSED_PAD src0_sel:DWORD src1_sel:BYTE_0
	global_load_dwordx4 v[12:15], v0, s[12:13] offset:336
	global_load_dwordx4 v[16:19], v0, s[12:13] offset:352
	v_add_u32_e32 v2, 0x400, v28
	v_add_u32_e32 v3, 0xc00, v28
	ds_read2_b64 v[33:36], v2 offset0:92 offset1:202
	ds_read2_b64 v[29:32], v28 offset1:110
	v_add_u32_e32 v1, 0x1400, v28
	v_add_u32_e32 v0, 0x1800, v28
	ds_read2_b64 v[37:40], v3 offset0:56 offset1:166
	ds_read2_b64 v[41:44], v1 offset0:20 offset1:130
	;; [unrolled: 1-line block ×3, first 2 shown]
	s_waitcnt vmcnt(0) lgkmcnt(0)
	s_barrier
	v_mul_f32_e32 v24, v5, v34
	v_mul_f32_e32 v25, v7, v38
	;; [unrolled: 1-line block ×5, first 2 shown]
	v_fmac_f32_e32 v24, v4, v33
	v_fmac_f32_e32 v25, v6, v37
	;; [unrolled: 1-line block ×3, first 2 shown]
	v_mul_f32_e32 v7, v7, v37
	v_mul_f32_e32 v9, v9, v41
	;; [unrolled: 1-line block ×7, first 2 shown]
	v_fma_f32 v33, v4, v34, -v5
	v_fmac_f32_e32 v54, v10, v45
	v_add_f32_e32 v4, v29, v24
	v_add_f32_e32 v5, v25, v53
	v_fma_f32 v34, v6, v38, -v7
	v_fma_f32 v37, v8, v42, -v9
	;; [unrolled: 1-line block ×3, first 2 shown]
	v_fmac_f32_e32 v55, v12, v35
	v_fma_f32 v35, v12, v36, -v13
	v_fmac_f32_e32 v56, v39, v14
	v_fma_f32 v36, v40, v14, -v15
	v_sub_f32_e32 v6, v24, v25
	v_sub_f32_e32 v8, v54, v53
	v_add_f32_e32 v14, v4, v25
	v_fma_f32 v4, -0.5, v5, v29
	v_sub_f32_e32 v7, v33, v38
	v_add_f32_e32 v5, v6, v8
	v_mov_b32_e32 v8, v4
	v_sub_f32_e32 v9, v34, v37
	v_add_f32_e32 v10, v24, v54
	v_fmac_f32_e32 v4, 0x3f737871, v7
	v_fmac_f32_e32 v8, 0xbf737871, v7
	v_sub_f32_e32 v11, v25, v24
	v_sub_f32_e32 v12, v53, v54
	v_add_f32_e32 v13, v30, v33
	v_fma_f32 v6, -0.5, v10, v29
	v_fmac_f32_e32 v4, 0x3f167918, v9
	v_fmac_f32_e32 v8, 0xbf167918, v9
	v_add_f32_e32 v11, v11, v12
	v_add_f32_e32 v12, v13, v34
	v_mov_b32_e32 v10, v6
	v_fmac_f32_e32 v4, 0x3e9e377a, v5
	v_fmac_f32_e32 v8, 0x3e9e377a, v5
	v_add_f32_e32 v5, v34, v37
	v_add_f32_e32 v13, v14, v53
	v_fmac_f32_e32 v6, 0xbf737871, v9
	v_add_f32_e32 v14, v12, v37
	v_fmac_f32_e32 v10, 0x3f737871, v9
	v_fma_f32 v5, -0.5, v5, v30
	v_add_f32_e32 v12, v13, v54
	v_fmac_f32_e32 v6, 0x3f167918, v7
	v_add_f32_e32 v13, v14, v38
	v_fmac_f32_e32 v10, 0xbf167918, v7
	v_sub_f32_e32 v14, v24, v54
	v_mov_b32_e32 v9, v5
	v_fmac_f32_e32 v6, 0x3e9e377a, v11
	v_fmac_f32_e32 v10, 0x3e9e377a, v11
	;; [unrolled: 1-line block ×3, first 2 shown]
	v_sub_f32_e32 v15, v25, v53
	v_sub_f32_e32 v7, v33, v34
	;; [unrolled: 1-line block ×3, first 2 shown]
	v_fmac_f32_e32 v5, 0xbf737871, v14
	v_fmac_f32_e32 v9, 0x3f167918, v15
	v_add_f32_e32 v7, v7, v11
	v_fmac_f32_e32 v5, 0xbf167918, v15
	v_fmac_f32_e32 v9, 0x3e9e377a, v7
	;; [unrolled: 1-line block ×3, first 2 shown]
	v_add_f32_e32 v7, v33, v38
	v_fma_f32 v7, -0.5, v7, v30
	v_mul_f32_e32 v57, v44, v17
	v_mul_f32_e32 v17, v43, v17
	v_mov_b32_e32 v11, v7
	v_fmac_f32_e32 v57, v43, v16
	v_fma_f32 v39, v44, v16, -v17
	v_fmac_f32_e32 v11, 0xbf737871, v15
	v_sub_f32_e32 v16, v34, v33
	v_sub_f32_e32 v17, v37, v38
	v_fmac_f32_e32 v7, 0x3f737871, v15
	v_mul_f32_e32 v58, v48, v19
	v_mul_f32_e32 v19, v47, v19
	v_fmac_f32_e32 v11, 0x3f167918, v14
	v_add_f32_e32 v16, v16, v17
	v_fmac_f32_e32 v7, 0xbf167918, v14
	v_add_f32_e32 v15, v56, v57
	v_fma_f32 v40, v48, v18, -v19
	v_fmac_f32_e32 v11, 0x3e9e377a, v16
	v_fmac_f32_e32 v7, 0x3e9e377a, v16
	v_fma_f32 v16, -0.5, v15, v31
	v_fmac_f32_e32 v58, v47, v18
	v_sub_f32_e32 v15, v35, v40
	v_mov_b32_e32 v18, v16
	v_fmac_f32_e32 v18, 0xbf737871, v15
	v_sub_f32_e32 v17, v36, v39
	v_sub_f32_e32 v19, v55, v56
	;; [unrolled: 1-line block ×3, first 2 shown]
	v_fmac_f32_e32 v16, 0x3f737871, v15
	v_fmac_f32_e32 v18, 0xbf167918, v17
	v_add_f32_e32 v19, v19, v24
	v_fmac_f32_e32 v16, 0x3f167918, v17
	v_fmac_f32_e32 v18, 0x3e9e377a, v19
	;; [unrolled: 1-line block ×3, first 2 shown]
	v_add_f32_e32 v19, v55, v58
	v_add_f32_e32 v14, v31, v55
	v_fma_f32 v31, -0.5, v19, v31
	v_mov_b32_e32 v24, v31
	v_fmac_f32_e32 v24, 0x3f737871, v17
	v_sub_f32_e32 v19, v56, v55
	v_sub_f32_e32 v25, v57, v58
	v_fmac_f32_e32 v31, 0xbf737871, v17
	v_add_f32_e32 v17, v36, v39
	v_fmac_f32_e32 v24, 0xbf167918, v15
	v_add_f32_e32 v19, v19, v25
	v_fmac_f32_e32 v31, 0x3f167918, v15
	v_fma_f32 v17, -0.5, v17, v32
	v_fmac_f32_e32 v24, 0x3e9e377a, v19
	v_fmac_f32_e32 v31, 0x3e9e377a, v19
	v_sub_f32_e32 v29, v55, v58
	v_mov_b32_e32 v19, v17
	v_fmac_f32_e32 v19, 0x3f737871, v29
	v_sub_f32_e32 v30, v56, v57
	v_sub_f32_e32 v25, v35, v36
	;; [unrolled: 1-line block ×3, first 2 shown]
	v_fmac_f32_e32 v17, 0xbf737871, v29
	v_fmac_f32_e32 v19, 0x3f167918, v30
	v_add_f32_e32 v25, v25, v33
	v_fmac_f32_e32 v17, 0xbf167918, v30
	v_fmac_f32_e32 v19, 0x3e9e377a, v25
	;; [unrolled: 1-line block ×3, first 2 shown]
	v_add_f32_e32 v25, v35, v40
	v_add_f32_e32 v15, v32, v35
	v_fmac_f32_e32 v32, -0.5, v25
	v_mov_b32_e32 v25, v32
	v_fmac_f32_e32 v25, 0xbf737871, v30
	v_sub_f32_e32 v33, v36, v35
	v_sub_f32_e32 v34, v39, v40
	v_fmac_f32_e32 v32, 0x3f737871, v30
	v_fmac_f32_e32 v25, 0x3f167918, v29
	v_add_f32_e32 v33, v33, v34
	v_fmac_f32_e32 v32, 0xbf167918, v29
	v_mov_b32_e32 v30, 3
	v_fmac_f32_e32 v25, 0x3e9e377a, v33
	v_fmac_f32_e32 v32, 0x3e9e377a, v33
	v_mul_u32_u24_e32 v29, 0x6e0, v49
	v_lshlrev_b32_sdwa v33, v30, v50 dst_sel:DWORD dst_unused:UNUSED_PAD src0_sel:DWORD src1_sel:BYTE_0
	v_add_f32_e32 v14, v14, v56
	v_add_f32_e32 v15, v15, v36
	v_add3_u32 v29, 0, v29, v33
	v_add_f32_e32 v14, v14, v57
	v_add_f32_e32 v15, v15, v39
	ds_write2_b64 v29, v[12:13], v[8:9] offset1:44
	ds_write2_b64 v29, v[10:11], v[6:7] offset0:88 offset1:132
	ds_write_b64 v29, v[4:5] offset:1408
	v_mul_u32_u24_e32 v4, 0x6e0, v51
	v_lshlrev_b32_sdwa v5, v30, v52 dst_sel:DWORD dst_unused:UNUSED_PAD src0_sel:DWORD src1_sel:BYTE_0
	v_add_f32_e32 v14, v14, v58
	v_add_f32_e32 v15, v15, v40
	v_add3_u32 v4, 0, v4, v5
	ds_write2_b64 v4, v[14:15], v[18:19] offset1:44
	ds_write2_b64 v4, v[24:25], v[31:32] offset0:88 offset1:132
	ds_write_b64 v4, v[16:17] offset:1408
	s_waitcnt lgkmcnt(0)
	s_barrier
	s_and_saveexec_b64 s[0:1], vcc
	s_cbranch_execz .LBB0_19
; %bb.18:
	v_lshlrev_b32_e32 v40, 2, v27
	v_mov_b32_e32 v41, 0
	v_lshlrev_b64 v[4:5], 3, v[40:41]
	v_mov_b32_e32 v27, s13
	v_add_co_u32_e32 v12, vcc, s12, v4
	v_addc_co_u32_e32 v13, vcc, v27, v5, vcc
	global_load_dwordx4 v[4:7], v[12:13], off offset:1744
	global_load_dwordx4 v[8:11], v[12:13], off offset:1760
	v_lshlrev_b32_e32 v40, 2, v26
	v_mul_lo_u32 v44, s3, v22
	v_mul_lo_u32 v45, s2, v23
	v_mad_u64_u32 v[42:43], s[0:1], s2, v22, 0
	ds_read2_b64 v[12:15], v3 offset0:56 offset1:166
	ds_read2_b64 v[16:19], v2 offset0:92 offset1:202
	ds_read2_b64 v[22:25], v1 offset0:20 offset1:130
	v_lshlrev_b64 v[1:2], 3, v[40:41]
	v_add3_u32 v43, v43, v45, v44
	v_add_co_u32_e32 v1, vcc, s12, v1
	v_addc_co_u32_e32 v2, vcc, v27, v2, vcc
	global_load_dwordx4 v[29:32], v[1:2], off offset:1760
	global_load_dwordx4 v[33:36], v[1:2], off offset:1744
	ds_read2_b64 v[0:3], v0 offset0:112 offset1:222
	ds_read2_b64 v[37:40], v28 offset1:110
	s_mov_b32 s0, 0x94f2095
	s_movk_i32 s1, 0xdc
	s_waitcnt vmcnt(3) lgkmcnt(4)
	v_mul_f32_e32 v27, v7, v14
	s_waitcnt lgkmcnt(3)
	v_mul_f32_e32 v28, v5, v18
	s_waitcnt vmcnt(2) lgkmcnt(2)
	v_mul_f32_e32 v44, v9, v24
	s_waitcnt lgkmcnt(1)
	v_mul_f32_e32 v45, v11, v2
	v_mul_f32_e32 v14, v6, v14
	;; [unrolled: 1-line block ×5, first 2 shown]
	v_fma_f32 v6, v6, v15, -v27
	v_fma_f32 v2, v4, v19, -v28
	;; [unrolled: 1-line block ×4, first 2 shown]
	v_fmac_f32_e32 v14, v15, v7
	v_fmac_f32_e32 v24, v25, v9
	;; [unrolled: 1-line block ×4, first 2 shown]
	v_add_f32_e32 v45, v6, v19
	v_sub_f32_e32 v3, v6, v2
	v_sub_f32_e32 v4, v19, v10
	v_add_f32_e32 v7, v2, v10
	v_sub_f32_e32 v18, v5, v46
	v_sub_f32_e32 v8, v14, v5
	;; [unrolled: 1-line block ×3, first 2 shown]
	v_add_f32_e32 v11, v5, v46
	v_sub_f32_e32 v47, v5, v14
	s_waitcnt lgkmcnt(0)
	v_add_f32_e32 v50, v2, v40
	v_add_f32_e32 v51, v5, v39
	v_fma_f32 v5, -0.5, v45, v40
	v_sub_f32_e32 v15, v14, v24
	v_sub_f32_e32 v25, v2, v10
	;; [unrolled: 1-line block ×3, first 2 shown]
	v_add_f32_e32 v49, v14, v24
	v_add_f32_e32 v52, v3, v4
	v_fma_f32 v3, -0.5, v7, v40
	v_add_f32_e32 v53, v8, v9
	v_fma_f32 v2, -0.5, v11, v39
	v_add_f32_e32 v11, v6, v50
	v_add_f32_e32 v14, v14, v51
	v_mov_b32_e32 v9, v5
	v_sub_f32_e32 v27, v6, v19
	v_fma_f32 v4, -0.5, v49, v39
	v_mov_b32_e32 v7, v3
	v_mov_b32_e32 v6, v2
	v_add_f32_e32 v11, v19, v11
	v_add_f32_e32 v14, v24, v14
	v_fmac_f32_e32 v9, 0x3f737871, v18
	v_fmac_f32_e32 v5, 0xbf737871, v18
	v_sub_f32_e32 v44, v10, v19
	v_mov_b32_e32 v8, v4
	v_fmac_f32_e32 v7, 0x3f737871, v15
	v_fmac_f32_e32 v6, 0xbf737871, v27
	v_add_f32_e32 v11, v10, v11
	v_add_f32_e32 v10, v46, v14
	v_fmac_f32_e32 v9, 0x3f167918, v15
	v_fmac_f32_e32 v3, 0xbf737871, v15
	;; [unrolled: 1-line block ×4, first 2 shown]
	s_waitcnt vmcnt(0)
	v_mul_f32_e32 v14, v34, v16
	v_mul_f32_e32 v15, v32, v0
	v_fmac_f32_e32 v8, 0xbf737871, v25
	v_fmac_f32_e32 v6, 0x3f167918, v25
	;; [unrolled: 1-line block ×4, first 2 shown]
	v_fma_f32 v19, v33, v17, -v14
	v_mul_f32_e32 v14, v36, v12
	v_fma_f32 v25, v31, v1, -v15
	v_mul_f32_e32 v15, v30, v22
	v_sub_f32_e32 v48, v46, v24
	v_fmac_f32_e32 v8, 0xbf167918, v27
	v_fmac_f32_e32 v4, 0x3f167918, v27
	v_fma_f32 v24, v35, v13, -v14
	v_fma_f32 v27, v29, v23, -v15
	v_add_f32_e32 v28, v28, v44
	v_sub_f32_e32 v14, v19, v24
	v_sub_f32_e32 v15, v25, v27
	v_mul_f32_e32 v34, v34, v17
	v_fmac_f32_e32 v9, 0x3e9e377a, v28
	v_fmac_f32_e32 v5, 0x3e9e377a, v28
	v_add_f32_e32 v28, v14, v15
	v_add_f32_e32 v14, v24, v27
	v_fmac_f32_e32 v34, v33, v16
	v_mul_f32_e32 v32, v32, v1
	v_mul_f32_e32 v33, v36, v13
	v_sub_f32_e32 v15, v24, v19
	v_sub_f32_e32 v16, v27, v25
	v_fma_f32 v14, -0.5, v14, v38
	v_fmac_f32_e32 v32, v31, v0
	v_fmac_f32_e32 v33, v35, v12
	v_mul_f32_e32 v12, v30, v23
	v_add_f32_e32 v35, v15, v16
	v_add_f32_e32 v15, v19, v25
	v_sub_f32_e32 v31, v34, v32
	v_mov_b32_e32 v1, v14
	v_fmac_f32_e32 v12, v29, v22
	v_fma_f32 v16, -0.5, v15, v38
	v_fmac_f32_e32 v7, 0xbf167918, v18
	v_fmac_f32_e32 v3, 0x3f167918, v18
	;; [unrolled: 1-line block ×3, first 2 shown]
	v_sub_f32_e32 v22, v33, v12
	v_mov_b32_e32 v18, v16
	v_fmac_f32_e32 v14, 0x3f737871, v31
	v_fmac_f32_e32 v1, 0xbf167918, v22
	;; [unrolled: 1-line block ×5, first 2 shown]
	v_lshrrev_b32_e32 v22, 2, v26
	v_sub_f32_e32 v0, v34, v33
	v_sub_f32_e32 v13, v32, v12
	v_mul_hi_u32 v22, v22, s0
	v_add_f32_e32 v23, v0, v13
	v_add_f32_e32 v0, v33, v12
	v_fma_f32 v13, -0.5, v0, v37
	v_sub_f32_e32 v29, v19, v25
	v_mov_b32_e32 v0, v13
	v_add_f32_e32 v19, v19, v38
	v_fmac_f32_e32 v0, 0x3f737871, v29
	v_sub_f32_e32 v30, v24, v27
	v_fmac_f32_e32 v13, 0xbf737871, v29
	v_add_f32_e32 v19, v24, v19
	v_lshrrev_b32_e32 v22, 1, v22
	v_fmac_f32_e32 v0, 0x3f167918, v30
	v_fmac_f32_e32 v13, 0xbf167918, v30
	v_add_f32_e32 v19, v19, v27
	v_mul_lo_u32 v24, v22, s1
	v_fmac_f32_e32 v0, 0x3e9e377a, v23
	v_fmac_f32_e32 v13, 0x3e9e377a, v23
	v_add_f32_e32 v23, v25, v19
	v_add_f32_e32 v19, v34, v37
	;; [unrolled: 1-line block ×3, first 2 shown]
	v_sub_f32_e32 v17, v12, v32
	v_add_f32_e32 v12, v19, v12
	v_add_f32_e32 v22, v32, v12
	v_sub_u32_e32 v12, v26, v24
	v_lshlrev_b64 v[24:25], 3, v[42:43]
	v_mov_b32_e32 v19, s11
	v_add_co_u32_e32 v24, vcc, s10, v24
	v_addc_co_u32_e32 v25, vcc, v19, v25, vcc
	v_lshlrev_b64 v[19:20], 3, v[20:21]
	v_lshlrev_b32_e32 v12, 3, v12
	v_add_co_u32_e32 v21, vcc, v24, v19
	v_addc_co_u32_e32 v24, vcc, v25, v20, vcc
	v_add_co_u32_e32 v19, vcc, v21, v12
	v_addc_co_u32_e32 v20, vcc, 0, v24, vcc
	v_sub_f32_e32 v15, v33, v34
	global_store_dwordx2 v[19:20], v[22:23], off
	v_add_u32_e32 v22, 0x6e, v26
	v_add_f32_e32 v36, v15, v17
	v_add_f32_e32 v15, v34, v32
	v_lshrrev_b32_e32 v12, 2, v22
	v_fma_f32 v15, -0.5, v15, v37
	v_mul_hi_u32 v12, v12, s0
	v_mov_b32_e32 v17, v15
	v_fmac_f32_e32 v15, 0x3f737871, v30
	v_fmac_f32_e32 v15, 0xbf167918, v29
	;; [unrolled: 1-line block ×6, first 2 shown]
	global_store_dwordx2 v[19:20], v[13:14], off offset:1760
	global_store_dwordx2 v[19:20], v[15:16], off offset:3520
	v_lshrrev_b32_e32 v15, 1, v12
	v_mul_lo_u32 v14, v15, s1
	s_movk_i32 s0, 0x1000
	v_add_co_u32_e32 v12, vcc, s0, v19
	v_sub_u32_e32 v14, v22, v14
	s_movk_i32 s0, 0x44c
	v_mad_u64_u32 v[14:15], s[0:1], v15, s0, v[14:15]
	v_fmac_f32_e32 v17, 0xbf737871, v30
	v_fmac_f32_e32 v18, 0xbf167918, v31
	;; [unrolled: 1-line block ×6, first 2 shown]
	v_addc_co_u32_e32 v13, vcc, 0, v20, vcc
	v_mov_b32_e32 v15, v41
	global_store_dwordx2 v[12:13], v[17:18], off offset:1184
	global_store_dwordx2 v[12:13], v[0:1], off offset:2944
	v_lshlrev_b64 v[0:1], 3, v[14:15]
	v_add_f32_e32 v40, v47, v48
	v_add_co_u32_e32 v0, vcc, v21, v0
	v_fmac_f32_e32 v8, 0x3e9e377a, v40
	v_fmac_f32_e32 v4, 0x3e9e377a, v40
	v_addc_co_u32_e32 v1, vcc, v24, v1, vcc
	v_add_u32_e32 v40, 0xdc, v14
	global_store_dwordx2 v[0:1], v[10:11], off
	v_lshlrev_b64 v[0:1], 3, v[40:41]
	v_add_u32_e32 v40, 0x1b8, v14
	v_add_co_u32_e32 v0, vcc, v21, v0
	v_addc_co_u32_e32 v1, vcc, v24, v1, vcc
	global_store_dwordx2 v[0:1], v[8:9], off
	v_lshlrev_b64 v[0:1], 3, v[40:41]
	v_fmac_f32_e32 v3, 0x3e9e377a, v52
	v_add_co_u32_e32 v0, vcc, v21, v0
	v_fmac_f32_e32 v2, 0x3e9e377a, v53
	v_addc_co_u32_e32 v1, vcc, v24, v1, vcc
	v_add_u32_e32 v40, 0x294, v14
	global_store_dwordx2 v[0:1], v[2:3], off
	v_lshlrev_b64 v[0:1], 3, v[40:41]
	v_fmac_f32_e32 v7, 0x3e9e377a, v52
	v_add_co_u32_e32 v0, vcc, v21, v0
	v_fmac_f32_e32 v6, 0x3e9e377a, v53
	v_addc_co_u32_e32 v1, vcc, v24, v1, vcc
	v_add_u32_e32 v40, 0x370, v14
	global_store_dwordx2 v[0:1], v[6:7], off
	v_lshlrev_b64 v[0:1], 3, v[40:41]
	v_add_co_u32_e32 v0, vcc, v21, v0
	v_addc_co_u32_e32 v1, vcc, v24, v1, vcc
	global_store_dwordx2 v[0:1], v[4:5], off
.LBB0_19:
	s_endpgm
	.section	.rodata,"a",@progbits
	.p2align	6, 0x0
	.amdhsa_kernel fft_rtc_back_len1100_factors_2_2_11_5_5_wgs_110_tpt_110_sp_op_CI_CI_unitstride_sbrr_dirReg
		.amdhsa_group_segment_fixed_size 0
		.amdhsa_private_segment_fixed_size 0
		.amdhsa_kernarg_size 104
		.amdhsa_user_sgpr_count 6
		.amdhsa_user_sgpr_private_segment_buffer 1
		.amdhsa_user_sgpr_dispatch_ptr 0
		.amdhsa_user_sgpr_queue_ptr 0
		.amdhsa_user_sgpr_kernarg_segment_ptr 1
		.amdhsa_user_sgpr_dispatch_id 0
		.amdhsa_user_sgpr_flat_scratch_init 0
		.amdhsa_user_sgpr_private_segment_size 0
		.amdhsa_uses_dynamic_stack 0
		.amdhsa_system_sgpr_private_segment_wavefront_offset 0
		.amdhsa_system_sgpr_workgroup_id_x 1
		.amdhsa_system_sgpr_workgroup_id_y 0
		.amdhsa_system_sgpr_workgroup_id_z 0
		.amdhsa_system_sgpr_workgroup_info 0
		.amdhsa_system_vgpr_workitem_id 0
		.amdhsa_next_free_vgpr 82
		.amdhsa_next_free_sgpr 28
		.amdhsa_reserve_vcc 1
		.amdhsa_reserve_flat_scratch 0
		.amdhsa_float_round_mode_32 0
		.amdhsa_float_round_mode_16_64 0
		.amdhsa_float_denorm_mode_32 3
		.amdhsa_float_denorm_mode_16_64 3
		.amdhsa_dx10_clamp 1
		.amdhsa_ieee_mode 1
		.amdhsa_fp16_overflow 0
		.amdhsa_exception_fp_ieee_invalid_op 0
		.amdhsa_exception_fp_denorm_src 0
		.amdhsa_exception_fp_ieee_div_zero 0
		.amdhsa_exception_fp_ieee_overflow 0
		.amdhsa_exception_fp_ieee_underflow 0
		.amdhsa_exception_fp_ieee_inexact 0
		.amdhsa_exception_int_div_zero 0
	.end_amdhsa_kernel
	.text
.Lfunc_end0:
	.size	fft_rtc_back_len1100_factors_2_2_11_5_5_wgs_110_tpt_110_sp_op_CI_CI_unitstride_sbrr_dirReg, .Lfunc_end0-fft_rtc_back_len1100_factors_2_2_11_5_5_wgs_110_tpt_110_sp_op_CI_CI_unitstride_sbrr_dirReg
                                        ; -- End function
	.section	.AMDGPU.csdata,"",@progbits
; Kernel info:
; codeLenInByte = 7184
; NumSgprs: 32
; NumVgprs: 82
; ScratchSize: 0
; MemoryBound: 0
; FloatMode: 240
; IeeeMode: 1
; LDSByteSize: 0 bytes/workgroup (compile time only)
; SGPRBlocks: 3
; VGPRBlocks: 20
; NumSGPRsForWavesPerEU: 32
; NumVGPRsForWavesPerEU: 82
; Occupancy: 3
; WaveLimiterHint : 1
; COMPUTE_PGM_RSRC2:SCRATCH_EN: 0
; COMPUTE_PGM_RSRC2:USER_SGPR: 6
; COMPUTE_PGM_RSRC2:TRAP_HANDLER: 0
; COMPUTE_PGM_RSRC2:TGID_X_EN: 1
; COMPUTE_PGM_RSRC2:TGID_Y_EN: 0
; COMPUTE_PGM_RSRC2:TGID_Z_EN: 0
; COMPUTE_PGM_RSRC2:TIDIG_COMP_CNT: 0
	.type	__hip_cuid_a9920111b7512773,@object ; @__hip_cuid_a9920111b7512773
	.section	.bss,"aw",@nobits
	.globl	__hip_cuid_a9920111b7512773
__hip_cuid_a9920111b7512773:
	.byte	0                               ; 0x0
	.size	__hip_cuid_a9920111b7512773, 1

	.ident	"AMD clang version 19.0.0git (https://github.com/RadeonOpenCompute/llvm-project roc-6.4.0 25133 c7fe45cf4b819c5991fe208aaa96edf142730f1d)"
	.section	".note.GNU-stack","",@progbits
	.addrsig
	.addrsig_sym __hip_cuid_a9920111b7512773
	.amdgpu_metadata
---
amdhsa.kernels:
  - .args:
      - .actual_access:  read_only
        .address_space:  global
        .offset:         0
        .size:           8
        .value_kind:     global_buffer
      - .offset:         8
        .size:           8
        .value_kind:     by_value
      - .actual_access:  read_only
        .address_space:  global
        .offset:         16
        .size:           8
        .value_kind:     global_buffer
      - .actual_access:  read_only
        .address_space:  global
        .offset:         24
        .size:           8
        .value_kind:     global_buffer
      - .actual_access:  read_only
        .address_space:  global
        .offset:         32
        .size:           8
        .value_kind:     global_buffer
      - .offset:         40
        .size:           8
        .value_kind:     by_value
      - .actual_access:  read_only
        .address_space:  global
        .offset:         48
        .size:           8
        .value_kind:     global_buffer
      - .actual_access:  read_only
        .address_space:  global
        .offset:         56
        .size:           8
        .value_kind:     global_buffer
      - .offset:         64
        .size:           4
        .value_kind:     by_value
      - .actual_access:  read_only
        .address_space:  global
        .offset:         72
        .size:           8
        .value_kind:     global_buffer
      - .actual_access:  read_only
        .address_space:  global
        .offset:         80
        .size:           8
        .value_kind:     global_buffer
      - .actual_access:  read_only
        .address_space:  global
        .offset:         88
        .size:           8
        .value_kind:     global_buffer
      - .actual_access:  write_only
        .address_space:  global
        .offset:         96
        .size:           8
        .value_kind:     global_buffer
    .group_segment_fixed_size: 0
    .kernarg_segment_align: 8
    .kernarg_segment_size: 104
    .language:       OpenCL C
    .language_version:
      - 2
      - 0
    .max_flat_workgroup_size: 110
    .name:           fft_rtc_back_len1100_factors_2_2_11_5_5_wgs_110_tpt_110_sp_op_CI_CI_unitstride_sbrr_dirReg
    .private_segment_fixed_size: 0
    .sgpr_count:     32
    .sgpr_spill_count: 0
    .symbol:         fft_rtc_back_len1100_factors_2_2_11_5_5_wgs_110_tpt_110_sp_op_CI_CI_unitstride_sbrr_dirReg.kd
    .uniform_work_group_size: 1
    .uses_dynamic_stack: false
    .vgpr_count:     82
    .vgpr_spill_count: 0
    .wavefront_size: 64
amdhsa.target:   amdgcn-amd-amdhsa--gfx906
amdhsa.version:
  - 1
  - 2
...

	.end_amdgpu_metadata
